;; amdgpu-corpus repo=ROCm/rocFFT kind=compiled arch=gfx950 opt=O3
	.text
	.amdgcn_target "amdgcn-amd-amdhsa--gfx950"
	.amdhsa_code_object_version 6
	.protected	fft_rtc_fwd_len396_factors_11_9_4_wgs_44_tpt_44_half_ip_CI_sbrr_dirReg ; -- Begin function fft_rtc_fwd_len396_factors_11_9_4_wgs_44_tpt_44_half_ip_CI_sbrr_dirReg
	.globl	fft_rtc_fwd_len396_factors_11_9_4_wgs_44_tpt_44_half_ip_CI_sbrr_dirReg
	.p2align	8
	.type	fft_rtc_fwd_len396_factors_11_9_4_wgs_44_tpt_44_half_ip_CI_sbrr_dirReg,@function
fft_rtc_fwd_len396_factors_11_9_4_wgs_44_tpt_44_half_ip_CI_sbrr_dirReg: ; @fft_rtc_fwd_len396_factors_11_9_4_wgs_44_tpt_44_half_ip_CI_sbrr_dirReg
; %bb.0:
	s_load_dwordx2 s[12:13], s[0:1], 0x18
	s_load_dwordx4 s[4:7], s[0:1], 0x0
	s_load_dwordx2 s[10:11], s[0:1], 0x50
	v_mul_u32_u24_e32 v1, 0x5d2, v0
	v_add_u32_sdwa v6, s2, v1 dst_sel:DWORD dst_unused:UNUSED_PAD src0_sel:DWORD src1_sel:WORD_1
	s_waitcnt lgkmcnt(0)
	s_load_dwordx2 s[8:9], s[12:13], 0x0
	v_mov_b32_e32 v4, 0
	v_cmp_lt_u64_e64 s[2:3], s[6:7], 2
	v_mov_b32_e32 v7, v4
	s_and_b64 vcc, exec, s[2:3]
	v_mov_b64_e32 v[2:3], 0
	s_cbranch_vccnz .LBB0_8
; %bb.1:
	s_load_dwordx2 s[2:3], s[0:1], 0x10
	s_add_u32 s14, s12, 8
	s_addc_u32 s15, s13, 0
	s_mov_b64 s[16:17], 1
	v_mov_b64_e32 v[2:3], 0
	s_waitcnt lgkmcnt(0)
	s_add_u32 s18, s2, 8
	s_addc_u32 s19, s3, 0
.LBB0_2:                                ; =>This Inner Loop Header: Depth=1
	s_load_dwordx2 s[20:21], s[18:19], 0x0
                                        ; implicit-def: $vgpr8_vgpr9
	s_waitcnt lgkmcnt(0)
	v_or_b32_e32 v5, s21, v7
	v_cmp_ne_u64_e32 vcc, 0, v[4:5]
	s_and_saveexec_b64 s[2:3], vcc
	s_xor_b64 s[22:23], exec, s[2:3]
	s_cbranch_execz .LBB0_4
; %bb.3:                                ;   in Loop: Header=BB0_2 Depth=1
	v_cvt_f32_u32_e32 v1, s20
	v_cvt_f32_u32_e32 v5, s21
	s_sub_u32 s2, 0, s20
	s_subb_u32 s3, 0, s21
	v_fmac_f32_e32 v1, 0x4f800000, v5
	v_rcp_f32_e32 v1, v1
	s_nop 0
	v_mul_f32_e32 v1, 0x5f7ffffc, v1
	v_mul_f32_e32 v5, 0x2f800000, v1
	v_trunc_f32_e32 v5, v5
	v_fmac_f32_e32 v1, 0xcf800000, v5
	v_cvt_u32_f32_e32 v5, v5
	v_cvt_u32_f32_e32 v1, v1
	v_mul_lo_u32 v8, s2, v5
	v_mul_hi_u32 v10, s2, v1
	v_mul_lo_u32 v9, s3, v1
	v_add_u32_e32 v10, v10, v8
	v_mul_lo_u32 v12, s2, v1
	v_add_u32_e32 v13, v10, v9
	v_mul_hi_u32 v8, v1, v12
	v_mul_hi_u32 v11, v1, v13
	v_mul_lo_u32 v10, v1, v13
	v_mov_b32_e32 v9, v4
	v_lshl_add_u64 v[8:9], v[8:9], 0, v[10:11]
	v_mul_hi_u32 v11, v5, v12
	v_mul_lo_u32 v12, v5, v12
	v_add_co_u32_e32 v8, vcc, v8, v12
	v_mul_hi_u32 v10, v5, v13
	s_nop 0
	v_addc_co_u32_e32 v8, vcc, v9, v11, vcc
	v_mov_b32_e32 v9, v4
	s_nop 0
	v_addc_co_u32_e32 v11, vcc, 0, v10, vcc
	v_mul_lo_u32 v10, v5, v13
	v_lshl_add_u64 v[8:9], v[8:9], 0, v[10:11]
	v_add_co_u32_e32 v1, vcc, v1, v8
	v_mul_lo_u32 v10, s2, v1
	s_nop 0
	v_addc_co_u32_e32 v5, vcc, v5, v9, vcc
	v_mul_lo_u32 v8, s2, v5
	v_mul_hi_u32 v9, s2, v1
	v_add_u32_e32 v8, v9, v8
	v_mul_lo_u32 v9, s3, v1
	v_add_u32_e32 v12, v8, v9
	v_mul_hi_u32 v14, v5, v10
	v_mul_lo_u32 v15, v5, v10
	v_mul_hi_u32 v9, v1, v12
	v_mul_lo_u32 v8, v1, v12
	v_mul_hi_u32 v10, v1, v10
	v_mov_b32_e32 v11, v4
	v_lshl_add_u64 v[8:9], v[10:11], 0, v[8:9]
	v_add_co_u32_e32 v8, vcc, v8, v15
	v_mul_hi_u32 v13, v5, v12
	s_nop 0
	v_addc_co_u32_e32 v8, vcc, v9, v14, vcc
	v_mul_lo_u32 v10, v5, v12
	s_nop 0
	v_addc_co_u32_e32 v11, vcc, 0, v13, vcc
	v_mov_b32_e32 v9, v4
	v_lshl_add_u64 v[8:9], v[8:9], 0, v[10:11]
	v_add_co_u32_e32 v1, vcc, v1, v8
	v_mul_hi_u32 v10, v6, v1
	s_nop 0
	v_addc_co_u32_e32 v5, vcc, v5, v9, vcc
	v_mad_u64_u32 v[8:9], s[2:3], v6, v5, 0
	v_mov_b32_e32 v11, v4
	v_lshl_add_u64 v[8:9], v[10:11], 0, v[8:9]
	v_mad_u64_u32 v[12:13], s[2:3], v7, v1, 0
	v_add_co_u32_e32 v1, vcc, v8, v12
	v_mad_u64_u32 v[10:11], s[2:3], v7, v5, 0
	s_nop 0
	v_addc_co_u32_e32 v8, vcc, v9, v13, vcc
	v_mov_b32_e32 v9, v4
	s_nop 0
	v_addc_co_u32_e32 v11, vcc, 0, v11, vcc
	v_lshl_add_u64 v[8:9], v[8:9], 0, v[10:11]
	v_mul_lo_u32 v1, s21, v8
	v_mul_lo_u32 v5, s20, v9
	v_mad_u64_u32 v[10:11], s[2:3], s20, v8, 0
	v_add3_u32 v1, v11, v5, v1
	v_sub_u32_e32 v5, v7, v1
	v_mov_b32_e32 v11, s21
	v_sub_co_u32_e32 v14, vcc, v6, v10
	v_lshl_add_u64 v[12:13], v[8:9], 0, 1
	s_nop 0
	v_subb_co_u32_e64 v5, s[2:3], v5, v11, vcc
	v_subrev_co_u32_e64 v10, s[2:3], s20, v14
	v_subb_co_u32_e32 v1, vcc, v7, v1, vcc
	s_nop 0
	v_subbrev_co_u32_e64 v5, s[2:3], 0, v5, s[2:3]
	v_cmp_le_u32_e64 s[2:3], s21, v5
	v_cmp_le_u32_e32 vcc, s21, v1
	s_nop 0
	v_cndmask_b32_e64 v11, 0, -1, s[2:3]
	v_cmp_le_u32_e64 s[2:3], s20, v10
	s_nop 1
	v_cndmask_b32_e64 v10, 0, -1, s[2:3]
	v_cmp_eq_u32_e64 s[2:3], s21, v5
	s_nop 1
	v_cndmask_b32_e64 v5, v11, v10, s[2:3]
	v_lshl_add_u64 v[10:11], v[8:9], 0, 2
	v_cmp_ne_u32_e64 s[2:3], 0, v5
	s_nop 1
	v_cndmask_b32_e64 v5, v13, v11, s[2:3]
	v_cndmask_b32_e64 v11, 0, -1, vcc
	v_cmp_le_u32_e32 vcc, s20, v14
	s_nop 1
	v_cndmask_b32_e64 v13, 0, -1, vcc
	v_cmp_eq_u32_e32 vcc, s21, v1
	s_nop 1
	v_cndmask_b32_e32 v1, v11, v13, vcc
	v_cmp_ne_u32_e32 vcc, 0, v1
	v_cndmask_b32_e64 v1, v12, v10, s[2:3]
	s_nop 0
	v_cndmask_b32_e32 v9, v9, v5, vcc
	v_cndmask_b32_e32 v8, v8, v1, vcc
.LBB0_4:                                ;   in Loop: Header=BB0_2 Depth=1
	s_andn2_saveexec_b64 s[2:3], s[22:23]
	s_cbranch_execz .LBB0_6
; %bb.5:                                ;   in Loop: Header=BB0_2 Depth=1
	v_cvt_f32_u32_e32 v1, s20
	s_sub_i32 s22, 0, s20
	v_rcp_iflag_f32_e32 v1, v1
	s_nop 0
	v_mul_f32_e32 v1, 0x4f7ffffe, v1
	v_cvt_u32_f32_e32 v1, v1
	v_mul_lo_u32 v5, s22, v1
	v_mul_hi_u32 v5, v1, v5
	v_add_u32_e32 v1, v1, v5
	v_mul_hi_u32 v1, v6, v1
	v_mul_lo_u32 v5, v1, s20
	v_sub_u32_e32 v5, v6, v5
	v_add_u32_e32 v8, 1, v1
	v_subrev_u32_e32 v9, s20, v5
	v_cmp_le_u32_e32 vcc, s20, v5
	s_nop 1
	v_cndmask_b32_e32 v5, v5, v9, vcc
	v_cndmask_b32_e32 v1, v1, v8, vcc
	v_add_u32_e32 v8, 1, v1
	v_cmp_le_u32_e32 vcc, s20, v5
	v_mov_b32_e32 v9, v4
	s_nop 0
	v_cndmask_b32_e32 v8, v1, v8, vcc
.LBB0_6:                                ;   in Loop: Header=BB0_2 Depth=1
	s_or_b64 exec, exec, s[2:3]
	v_mad_u64_u32 v[10:11], s[2:3], v8, s20, 0
	s_load_dwordx2 s[2:3], s[14:15], 0x0
	v_mul_lo_u32 v1, v9, s20
	v_mul_lo_u32 v5, v8, s21
	v_add3_u32 v1, v11, v5, v1
	v_sub_co_u32_e32 v5, vcc, v6, v10
	s_add_u32 s16, s16, 1
	s_nop 0
	v_subb_co_u32_e32 v1, vcc, v7, v1, vcc
	s_addc_u32 s17, s17, 0
	s_waitcnt lgkmcnt(0)
	v_mul_lo_u32 v1, s2, v1
	v_mul_lo_u32 v6, s3, v5
	v_mad_u64_u32 v[2:3], s[2:3], s2, v5, v[2:3]
	s_add_u32 s14, s14, 8
	v_add3_u32 v3, v6, v3, v1
	s_addc_u32 s15, s15, 0
	v_mov_b64_e32 v[6:7], s[6:7]
	s_add_u32 s18, s18, 8
	v_cmp_ge_u64_e32 vcc, s[16:17], v[6:7]
	s_addc_u32 s19, s19, 0
	s_cbranch_vccnz .LBB0_9
; %bb.7:                                ;   in Loop: Header=BB0_2 Depth=1
	v_mov_b64_e32 v[6:7], v[8:9]
	s_branch .LBB0_2
.LBB0_8:
	v_mov_b64_e32 v[8:9], v[6:7]
.LBB0_9:
	s_lshl_b64 s[2:3], s[6:7], 3
	s_add_u32 s2, s12, s2
	s_addc_u32 s3, s13, s3
	s_load_dwordx2 s[6:7], s[2:3], 0x0
	s_load_dwordx2 s[12:13], s[0:1], 0x20
	s_waitcnt lgkmcnt(0)
	v_mad_u64_u32 v[2:3], s[0:1], s6, v8, v[2:3]
	v_mul_lo_u32 v1, s6, v9
	v_mul_lo_u32 v4, s7, v8
	s_mov_b32 s0, 0x5d1745e
	v_add3_u32 v3, v4, v3, v1
	v_mul_hi_u32 v1, v0, s0
	v_mul_u32_u24_e32 v1, 44, v1
	v_sub_u32_e32 v17, v0, v1
	v_cmp_gt_u64_e32 vcc, s[12:13], v[8:9]
	v_lshl_add_u64 v[0:1], v[2:3], 2, s[10:11]
	v_lshl_add_u32 v16, v17, 2, 0
	v_add_u32_e32 v18, 44, v17
	s_and_saveexec_b64 s[0:1], vcc
	s_cbranch_execz .LBB0_11
; %bb.10:
	v_mad_u64_u32 v[2:3], s[2:3], s8, v17, 0
	v_mov_b32_e32 v4, v3
	v_mad_u64_u32 v[4:5], s[2:3], s9, v17, v[4:5]
	v_mov_b32_e32 v3, v4
	;; [unrolled: 2-line block ×3, first 2 shown]
	v_mad_u64_u32 v[6:7], s[2:3], s9, v18, v[6:7]
	v_add_u32_e32 v9, 0x58, v17
	v_mov_b32_e32 v5, v6
	v_mad_u64_u32 v[6:7], s[2:3], s8, v9, 0
	v_mov_b32_e32 v8, v7
	v_mad_u64_u32 v[8:9], s[2:3], s9, v9, v[8:9]
	v_add_u32_e32 v11, 0x84, v17
	v_mov_b32_e32 v7, v8
	v_mad_u64_u32 v[8:9], s[2:3], s8, v11, 0
	v_mov_b32_e32 v10, v9
	;; [unrolled: 5-line block ×6, first 2 shown]
	v_mad_u64_u32 v[22:23], s[2:3], s9, v19, v[22:23]
	v_lshl_add_u64 v[2:3], v[2:3], 2, v[0:1]
	v_lshl_add_u64 v[4:5], v[4:5], 2, v[0:1]
	v_mov_b32_e32 v21, v22
	v_lshl_add_u64 v[6:7], v[6:7], 2, v[0:1]
	v_lshl_add_u64 v[8:9], v[8:9], 2, v[0:1]
	v_lshl_add_u64 v[10:11], v[10:11], 2, v[0:1]
	v_lshl_add_u64 v[12:13], v[12:13], 2, v[0:1]
	v_lshl_add_u64 v[14:15], v[14:15], 2, v[0:1]
	v_lshl_add_u64 v[20:21], v[20:21], 2, v[0:1]
	global_load_dword v19, v[2:3], off
	global_load_dword v22, v[4:5], off
	;; [unrolled: 1-line block ×8, first 2 shown]
	v_add_u32_e32 v5, 0x160, v17
	v_mad_u64_u32 v[2:3], s[2:3], s8, v5, 0
	v_mov_b32_e32 v4, v3
	v_mad_u64_u32 v[4:5], s[2:3], s9, v5, v[4:5]
	v_mov_b32_e32 v3, v4
	v_lshl_add_u64 v[2:3], v[2:3], 2, v[0:1]
	global_load_dword v2, v[2:3], off
	v_add_u32_e32 v3, 0x400, v16
	s_waitcnt vmcnt(7)
	ds_write2_b32 v16, v19, v22 offset1:44
	s_waitcnt vmcnt(5)
	ds_write2_b32 v16, v23, v24 offset0:88 offset1:132
	s_waitcnt vmcnt(3)
	ds_write2_b32 v16, v25, v26 offset0:176 offset1:220
	;; [unrolled: 2-line block ×3, first 2 shown]
	s_waitcnt vmcnt(0)
	ds_write_b32 v16, v2 offset:1408
.LBB0_11:
	s_or_b64 exec, exec, s[0:1]
	v_add_u32_e32 v5, 0x400, v16
	s_waitcnt lgkmcnt(0)
	; wave barrier
	s_waitcnt lgkmcnt(0)
	ds_read2_b32 v[6:7], v16 offset1:36
	ds_read2_b32 v[8:9], v16 offset0:72 offset1:108
	ds_read_b32 v2, v16 offset:1440
	ds_read2_b32 v[14:15], v16 offset0:144 offset1:180
	ds_read2_b32 v[10:11], v16 offset0:216 offset1:252
	;; [unrolled: 1-line block ×3, first 2 shown]
	s_movk_i32 s6, 0x3abb
	s_waitcnt lgkmcnt(3)
	v_sub_f16_sdwa v55, v7, v2 dst_sel:DWORD dst_unused:UNUSED_PAD src0_sel:WORD_1 src1_sel:WORD_1
	v_add_f16_e32 v25, v2, v7
	v_sub_f16_e32 v40, v7, v2
	v_mul_f16_e32 v21, 0xb853, v55
	s_waitcnt lgkmcnt(0)
	v_sub_f16_sdwa v57, v8, v13 dst_sel:DWORD dst_unused:UNUSED_PAD src0_sel:WORD_1 src1_sel:WORD_1
	v_add_f16_sdwa v26, v2, v7 dst_sel:DWORD dst_unused:UNUSED_PAD src0_sel:WORD_1 src1_sel:WORD_1
	v_mul_f16_e32 v22, 0xb853, v40
	v_fma_f16 v3, v25, s6, v21
	s_movk_i32 s7, 0x36a6
	v_add_f16_e32 v30, v13, v8
	v_sub_f16_e32 v46, v8, v13
	v_mul_f16_e32 v23, 0xbb47, v57
	v_add_f16_e32 v3, v6, v3
	v_fma_f16 v4, v26, s6, -v22
	v_mul_f16_e32 v28, 0xbb47, v55
	v_add_f16_sdwa v31, v13, v8 dst_sel:DWORD dst_unused:UNUSED_PAD src0_sel:WORD_1 src1_sel:WORD_1
	v_mul_f16_e32 v24, 0xbb47, v46
	v_fma_f16 v27, v30, s7, v23
	v_add_f16_sdwa v4, v6, v4 dst_sel:DWORD dst_unused:UNUSED_PAD src0_sel:WORD_1 src1_sel:DWORD
	v_mul_f16_e32 v34, 0xbb47, v40
	v_fma_f16 v19, v25, s7, v28
	v_add_f16_e32 v3, v27, v3
	v_fma_f16 v27, v31, s7, -v24
	s_mov_b32 s11, 0xb93d
	v_mul_f16_e32 v32, 0xba0c, v57
	v_add_f16_e32 v19, v6, v19
	v_fma_f16 v20, v26, s7, -v34
	v_add_f16_e32 v4, v27, v4
	v_mul_f16_e32 v41, 0xba0c, v46
	v_fma_f16 v27, v30, s11, v32
	v_add_f16_sdwa v20, v6, v20 dst_sel:DWORD dst_unused:UNUSED_PAD src0_sel:WORD_1 src1_sel:DWORD
	v_add_f16_e32 v19, v27, v19
	v_fma_f16 v27, v31, s11, -v41
	v_sub_f16_sdwa v58, v9, v12 dst_sel:DWORD dst_unused:UNUSED_PAD src0_sel:WORD_1 src1_sel:WORD_1
	v_add_f16_e32 v20, v27, v20
	v_add_f16_e32 v35, v12, v9
	v_sub_f16_e32 v51, v9, v12
	s_mov_b32 s13, 0xb08e
	v_mul_f16_e32 v27, 0xbbeb, v58
	v_add_f16_sdwa v37, v12, v9 dst_sel:DWORD dst_unused:UNUSED_PAD src0_sel:WORD_1 src1_sel:WORD_1
	v_mul_f16_e32 v29, 0xbbeb, v51
	v_fma_f16 v33, v35, s13, v27
	v_add_f16_e32 v3, v33, v3
	v_fma_f16 v33, v37, s13, -v29
	s_mov_b32 s14, 0xbbad
	v_mul_f16_e32 v38, 0x3482, v58
	v_add_f16_e32 v4, v33, v4
	v_mul_f16_e32 v49, 0x3482, v51
	v_fma_f16 v33, v35, s14, v38
	v_add_f16_e32 v19, v33, v19
	v_fma_f16 v33, v37, s14, -v49
	v_sub_f16_sdwa v59, v14, v11 dst_sel:DWORD dst_unused:UNUSED_PAD src0_sel:WORD_1 src1_sel:WORD_1
	v_add_f16_e32 v20, v33, v20
	v_add_f16_e32 v42, v11, v14
	v_sub_f16_e32 v54, v14, v11
	v_mul_f16_e32 v33, 0xba0c, v59
	v_add_f16_sdwa v45, v11, v14 dst_sel:DWORD dst_unused:UNUSED_PAD src0_sel:WORD_1 src1_sel:WORD_1
	v_mul_f16_e32 v36, 0xba0c, v54
	v_fma_f16 v39, v42, s11, v33
	v_add_f16_e32 v3, v39, v3
	v_fma_f16 v39, v45, s11, -v36
	v_mul_f16_e32 v43, 0x3beb, v59
	v_add_f16_e32 v50, v39, v4
	v_mul_f16_e32 v52, 0x3beb, v54
	v_fma_f16 v4, v42, s13, v43
	v_sub_f16_sdwa v60, v15, v10 dst_sel:DWORD dst_unused:UNUSED_PAD src0_sel:WORD_1 src1_sel:WORD_1
	v_add_f16_e32 v61, v4, v19
	v_fma_f16 v4, v45, s13, -v52
	v_add_f16_e32 v47, v10, v15
	v_sub_f16_e32 v56, v15, v10
	v_mul_f16_e32 v39, 0xb482, v60
	v_add_f16_e32 v20, v4, v20
	v_add_f16_sdwa v48, v10, v15 dst_sel:DWORD dst_unused:UNUSED_PAD src0_sel:WORD_1 src1_sel:WORD_1
	v_mul_f16_e32 v44, 0xb482, v56
	v_fma_f16 v4, v47, s14, v39
	v_add_f16_e32 v4, v4, v3
	v_fma_f16 v3, v48, s14, -v44
	v_mul_f16_e32 v53, 0x3853, v56
	v_add_f16_e32 v19, v3, v50
	v_mul_f16_e32 v50, 0x3853, v60
	v_fma_f16 v3, v48, s6, -v53
	v_add_f16_e32 v20, v3, v20
	v_fma_f16 v3, v47, s6, v50
	s_mov_b32 s10, 0xb853
	s_mov_b32 s17, 0xbb47
	;; [unrolled: 1-line block ×4, first 2 shown]
	s_movk_i32 s16, 0x3482
	s_movk_i32 s18, 0x3beb
	s_mov_b32 s19, 0xb482
	s_movk_i32 s20, 0x3853
	v_add_f16_e32 v3, v3, v61
	v_cmp_gt_u32_e64 s[0:1], 36, v17
	s_waitcnt lgkmcnt(0)
	; wave barrier
	s_and_saveexec_b64 s[2:3], s[0:1]
	s_cbranch_execz .LBB0_13
; %bb.12:
	v_mul_f16_e32 v61, 0xb08e, v26
	v_fma_f16 v62, v40, s18, v61
	v_mul_f16_e32 v63, 0xbbad, v31
	v_add_f16_sdwa v62, v6, v62 dst_sel:DWORD dst_unused:UNUSED_PAD src0_sel:WORD_1 src1_sel:DWORD
	v_fma_f16 v64, v46, s19, v63
	v_add_f16_e32 v62, v64, v62
	v_mul_f16_e32 v64, 0x36a6, v37
	v_fma_f16 v65, v51, s17, v64
	v_add_f16_e32 v62, v65, v62
	v_mul_f16_e32 v65, 0x3abb, v45
	v_fma_f16 v66, v54, s20, v65
	v_add_f16_e32 v62, v66, v62
	s_movk_i32 s0, 0x3a0c
	v_mul_f16_e32 v66, 0xb93d, v48
	v_fma_f16 v67, v56, s0, v66
	v_add_f16_e32 v62, v67, v62
	v_mul_f16_e32 v67, 0xbbeb, v55
	v_fma_f16 v68, v25, s13, v67
	v_mul_f16_e32 v69, 0x3482, v57
	v_add_f16_e32 v68, v6, v68
	v_fma_f16 v70, v30, s14, v69
	v_add_f16_e32 v68, v70, v68
	v_mul_f16_e32 v70, 0x3b47, v58
	v_fma_f16 v71, v35, s7, v70
	v_add_f16_e32 v68, v71, v68
	v_mul_f16_e32 v71, 0xb853, v59
	;; [unrolled: 3-line block ×4, first 2 shown]
	v_fma_f16 v74, v40, s0, v73
	v_mul_f16_e32 v75, 0xb08e, v31
	v_add_f16_sdwa v74, v6, v74 dst_sel:DWORD dst_unused:UNUSED_PAD src0_sel:WORD_1 src1_sel:DWORD
	v_fma_f16 v76, v46, s15, v75
	v_add_f16_e32 v74, v76, v74
	v_mul_f16_e32 v76, 0x3abb, v37
	v_fma_f16 v77, v51, s20, v76
	v_add_f16_e32 v74, v77, v74
	v_mul_f16_e32 v77, 0xbbad, v45
	;; [unrolled: 3-line block ×4, first 2 shown]
	v_fma_f16 v80, v25, s11, v79
	v_mul_f16_e32 v81, 0x3beb, v57
	v_add_f16_e32 v80, v6, v80
	v_fma_f16 v82, v30, s13, v81
	v_add_f16_e32 v80, v82, v80
	v_mul_f16_e32 v82, 0xb853, v58
	v_fma_f16 v83, v35, s6, v82
	v_add_f16_e32 v80, v83, v80
	v_mul_f16_e32 v83, 0xb482, v59
	;; [unrolled: 3-line block ×4, first 2 shown]
	v_fma_f16 v86, v40, s16, v85
	v_mul_f16_e32 v87, 0x3abb, v31
	v_add_f16_sdwa v86, v6, v86 dst_sel:DWORD dst_unused:UNUSED_PAD src0_sel:WORD_1 src1_sel:DWORD
	v_fma_f16 v88, v46, s10, v87
	v_add_f16_e32 v86, v88, v86
	v_mul_f16_e32 v88, 0xb93d, v37
	v_fma_f16 v89, v51, s0, v88
	v_add_f16_e32 v86, v89, v86
	v_mul_f16_e32 v89, 0x36a6, v45
	;; [unrolled: 3-line block ×3, first 2 shown]
	v_fma_f16 v91, v56, s18, v90
	v_mul_f16_e32 v55, 0xb482, v55
	v_add_f16_e32 v86, v91, v86
	v_fma_f16 v91, v25, s14, v55
	v_mul_f16_e32 v57, 0x3853, v57
	v_fma_f16 v55, v25, s14, -v55
	v_fma_f16 v92, v30, s6, v57
	v_mul_f16_e32 v58, 0xba0c, v58
	v_add_f16_e32 v55, v6, v55
	v_fma_f16 v57, v30, s6, -v57
	v_mul_f16_e32 v59, 0x3b47, v59
	v_add_f16_e32 v55, v57, v55
	v_fma_f16 v57, v35, s11, -v58
	;; [unrolled: 3-line block ×3, first 2 shown]
	v_add_f16_e32 v55, v57, v55
	v_fma_f16 v57, v47, s13, -v60
	v_add_f16_e32 v91, v6, v91
	v_fma_f16 v85, v40, s19, v85
	v_add_f16_e32 v55, v57, v55
	v_fma_f16 v57, v40, s12, v73
	v_fma_f16 v40, v40, s15, v61
	v_add_f16_e32 v91, v92, v91
	v_fma_f16 v92, v35, s11, v58
	v_fma_f16 v87, v46, s20, v87
	s_movk_i32 s0, 0x3b47
	v_fma_f16 v58, v46, s18, v75
	v_fma_f16 v46, v46, s16, v63
	v_add_f16_sdwa v40, v6, v40 dst_sel:DWORD dst_unused:UNUSED_PAD src0_sel:WORD_1 src1_sel:DWORD
	v_add_f16_e32 v40, v46, v40
	v_fma_f16 v46, v51, s0, v64
	v_add_f16_e32 v40, v46, v40
	v_fma_f16 v46, v54, s10, v65
	;; [unrolled: 2-line block ×3, first 2 shown]
	v_add_f16_sdwa v85, v6, v85 dst_sel:DWORD dst_unused:UNUSED_PAD src0_sel:WORD_1 src1_sel:DWORD
	v_add_f16_sdwa v57, v6, v57 dst_sel:DWORD dst_unused:UNUSED_PAD src0_sel:WORD_1 src1_sel:DWORD
	v_add_f16_e32 v40, v46, v40
	v_fma_f16 v46, v25, s13, -v67
	v_add_f16_e32 v85, v87, v85
	v_fma_f16 v87, v51, s12, v88
	v_add_f16_e32 v57, v58, v57
	v_fma_f16 v58, v51, s10, v76
	v_add_f16_e32 v46, v6, v46
	v_fma_f16 v51, v30, s14, -v69
	v_add_f16_e32 v46, v51, v46
	v_fma_f16 v51, v35, s7, -v70
	;; [unrolled: 2-line block ×4, first 2 shown]
	v_add_f16_e32 v46, v51, v46
	v_mul_f16_e32 v51, 0x36a6, v26
	v_add_f16_e32 v34, v34, v51
	v_mul_f16_e32 v51, 0xb93d, v31
	v_add_f16_e32 v41, v41, v51
	v_add_f16_sdwa v34, v6, v34 dst_sel:DWORD dst_unused:UNUSED_PAD src0_sel:WORD_1 src1_sel:DWORD
	v_add_f16_e32 v34, v41, v34
	v_mul_f16_e32 v41, 0xbbad, v37
	v_add_f16_e32 v41, v49, v41
	v_add_f16_e32 v34, v41, v34
	v_mul_f16_e32 v41, 0xb08e, v45
	v_add_f16_e32 v41, v52, v41
	v_add_f16_e32 v57, v58, v57
	v_fma_f16 v58, v54, s19, v77
	v_mul_f16_e32 v49, 0x3abb, v25
	v_add_f16_e32 v34, v41, v34
	v_mul_f16_e32 v41, 0x3abb, v48
	v_add_f16_e32 v57, v58, v57
	v_fma_f16 v58, v56, s0, v78
	v_add_f16_e32 v41, v53, v41
	v_mul_f16_e32 v51, 0x36a6, v30
	v_sub_f16_e32 v21, v49, v21
	v_add_f16_e32 v57, v58, v57
	v_fma_f16 v58, v25, s11, -v79
	v_mul_f16_e32 v25, 0x36a6, v25
	v_add_f16_e32 v34, v41, v34
	v_mul_f16_e32 v41, 0xb08e, v35
	v_add_f16_e32 v21, v6, v21
	v_sub_f16_e32 v23, v51, v23
	v_add_f16_e32 v91, v92, v91
	v_fma_f16 v92, v42, s7, v59
	v_fma_f16 v59, v30, s13, -v81
	v_mul_f16_e32 v30, 0xb93d, v30
	v_sub_f16_e32 v25, v25, v28
	v_mul_f16_e32 v28, 0xb93d, v42
	v_add_f16_e32 v21, v23, v21
	v_sub_f16_e32 v23, v41, v27
	v_mul_f16_e32 v26, 0x3abb, v26
	v_sub_f16_e32 v30, v30, v32
	v_mul_f16_e32 v32, 0xbbad, v47
	v_add_f16_e32 v21, v23, v21
	v_sub_f16_e32 v23, v28, v33
	v_add_f16_e32 v22, v22, v26
	v_add_f16_e32 v21, v23, v21
	v_sub_f16_e32 v23, v32, v39
	v_add_f16_e32 v58, v6, v58
	v_add_f16_e32 v25, v6, v25
	v_add_f16_sdwa v22, v6, v22 dst_sel:DWORD dst_unused:UNUSED_PAD src0_sel:WORD_1 src1_sel:DWORD
	v_add_f16_e32 v21, v23, v21
	v_add_f16_e32 v23, v6, v7
	v_add_f16_sdwa v6, v6, v7 dst_sel:DWORD dst_unused:UNUSED_PAD src0_sel:WORD_1 src1_sel:WORD_1
	v_add_f16_e32 v23, v23, v8
	v_add_f16_sdwa v6, v6, v8 dst_sel:DWORD dst_unused:UNUSED_PAD src0_sel:DWORD src1_sel:WORD_1
	v_add_f16_e32 v23, v23, v9
	v_add_f16_sdwa v6, v6, v9 dst_sel:DWORD dst_unused:UNUSED_PAD src0_sel:DWORD src1_sel:WORD_1
	;; [unrolled: 2-line block ×3, first 2 shown]
	v_mul_f16_e32 v31, 0x36a6, v31
	v_add_f16_e32 v23, v23, v15
	v_add_f16_sdwa v6, v6, v15 dst_sel:DWORD dst_unused:UNUSED_PAD src0_sel:DWORD src1_sel:WORD_1
	v_mul_f16_e32 v37, 0xb08e, v37
	v_add_f16_e32 v24, v24, v31
	v_add_f16_e32 v23, v23, v10
	v_add_f16_sdwa v6, v6, v10 dst_sel:DWORD dst_unused:UNUSED_PAD src0_sel:DWORD src1_sel:WORD_1
	v_add_f16_e32 v58, v59, v58
	v_fma_f16 v59, v35, s6, -v82
	v_mul_f16_e32 v35, 0xbbad, v35
	v_mul_f16_e32 v45, 0xb93d, v45
	v_add_f16_e32 v22, v24, v22
	v_add_f16_e32 v24, v29, v37
	;; [unrolled: 1-line block ×3, first 2 shown]
	v_add_f16_sdwa v6, v6, v11 dst_sel:DWORD dst_unused:UNUSED_PAD src0_sel:DWORD src1_sel:WORD_1
	v_add_f16_e32 v58, v59, v58
	v_fma_f16 v59, v42, s14, -v83
	v_mul_f16_e32 v42, 0xb08e, v42
	v_mul_f16_e32 v48, 0xbbad, v48
	v_add_f16_e32 v25, v30, v25
	v_sub_f16_e32 v30, v35, v38
	v_add_f16_e32 v22, v24, v22
	v_add_f16_e32 v24, v36, v45
	;; [unrolled: 1-line block ×3, first 2 shown]
	v_add_f16_sdwa v6, v6, v12 dst_sel:DWORD dst_unused:UNUSED_PAD src0_sel:DWORD src1_sel:WORD_1
	v_add_f16_e32 v91, v92, v91
	v_fma_f16 v92, v47, s13, v60
	v_add_f16_e32 v58, v59, v58
	v_fma_f16 v59, v47, s7, -v84
	v_mul_f16_e32 v47, 0x3abb, v47
	v_add_f16_e32 v25, v30, v25
	v_sub_f16_e32 v30, v42, v43
	v_add_f16_e32 v22, v24, v22
	v_add_f16_e32 v24, v44, v48
	;; [unrolled: 1-line block ×3, first 2 shown]
	v_add_f16_sdwa v6, v6, v13 dst_sel:DWORD dst_unused:UNUSED_PAD src0_sel:DWORD src1_sel:WORD_1
	v_add_f16_e32 v85, v87, v85
	v_fma_f16 v87, v54, s0, v89
	v_add_f16_e32 v25, v30, v25
	v_sub_f16_e32 v30, v47, v50
	v_add_f16_e32 v22, v24, v22
	v_add_f16_e32 v23, v23, v2
	v_add_f16_sdwa v2, v6, v2 dst_sel:DWORD dst_unused:UNUSED_PAD src0_sel:DWORD src1_sel:WORD_1
	v_add_f16_e32 v85, v87, v85
	v_fma_f16 v87, v56, s15, v90
	v_add_f16_e32 v25, v30, v25
	v_mad_u32_u24 v6, v17, 40, v16
	v_pack_b32_f16 v7, v21, v22
	v_pack_b32_f16 v2, v23, v2
	v_add_f16_e32 v85, v87, v85
	v_add_f16_e32 v58, v59, v58
	ds_write2_b32 v6, v2, v7 offset1:1
	v_pack_b32_f16 v2, v25, v34
	v_pack_b32_f16 v7, v46, v40
	v_add_f16_e32 v91, v92, v91
	ds_write2_b32 v6, v2, v7 offset0:2 offset1:3
	v_pack_b32_f16 v2, v55, v85
	v_pack_b32_f16 v7, v58, v57
	ds_write2_b32 v6, v7, v2 offset0:4 offset1:5
	v_pack_b32_f16 v2, v80, v74
	v_pack_b32_f16 v7, v91, v86
	s_mov_b32 s0, 0x5040100
	ds_write2_b32 v6, v7, v2 offset0:6 offset1:7
	v_pack_b32_f16 v2, v68, v62
	v_perm_b32 v7, v20, v3, s0
	ds_write2_b32 v6, v2, v7 offset0:8 offset1:9
	v_perm_b32 v2, v19, v4, s0
	ds_write_b32 v6, v2 offset:40
.LBB0_13:
	s_or_b64 exec, exec, s[2:3]
	s_movk_i32 s0, 0x75
	v_mul_lo_u16_sdwa v2, v17, s0 dst_sel:DWORD dst_unused:UNUSED_PAD src0_sel:BYTE_0 src1_sel:DWORD
	v_sub_u16_sdwa v6, v17, v2 dst_sel:DWORD dst_unused:UNUSED_PAD src0_sel:DWORD src1_sel:BYTE_1
	v_lshrrev_b16_e32 v6, 1, v6
	v_and_b32_e32 v6, 0x7f, v6
	v_add_u16_sdwa v2, v6, v2 dst_sel:DWORD dst_unused:UNUSED_PAD src0_sel:DWORD src1_sel:BYTE_1
	v_lshrrev_b16_e32 v21, 3, v2
	v_mul_lo_u16_e32 v2, 11, v21
	v_sub_u16_e32 v28, v17, v2
	v_mov_b32_e32 v2, 5
	v_lshlrev_b32_sdwa v2, v2, v28 dst_sel:DWORD dst_unused:UNUSED_PAD src0_sel:DWORD src1_sel:BYTE_0
	s_waitcnt lgkmcnt(0)
	; wave barrier
	s_waitcnt lgkmcnt(0)
	global_load_dwordx4 v[6:9], v2, s[4:5]
	global_load_dwordx4 v[10:13], v2, s[4:5] offset:16
	ds_read2_b32 v[22:23], v16 offset1:44
	ds_read2_b32 v[14:15], v16 offset0:88 offset1:132
	ds_read2_b32 v[24:25], v16 offset0:176 offset1:220
	;; [unrolled: 1-line block ×3, first 2 shown]
	ds_read_b32 v2, v16 offset:1408
	s_mov_b32 s0, 0x7060302
	s_mov_b32 s1, 0x5040100
	s_waitcnt lgkmcnt(2)
	v_lshrrev_b32_e32 v32, 16, v24
	s_waitcnt lgkmcnt(1)
	v_lshrrev_b32_e32 v29, 16, v26
	;; [unrolled: 2-line block ×3, first 2 shown]
	v_lshrrev_b32_e32 v30, 16, v27
	v_lshrrev_b32_e32 v33, 16, v25
	v_perm_b32 v34, v25, v24, s0
	v_perm_b32 v35, v25, v24, s1
	s_movk_i32 s2, 0x3be1
	s_movk_i32 s7, 0x3a21
	v_lshrrev_b32_e32 v36, 16, v22
	s_movk_i32 s3, 0x3aee
	s_movk_i32 s10, 0x318f
	;; [unrolled: 1-line block ×3, first 2 shown]
	s_waitcnt lgkmcnt(0)
	; wave barrier
	s_waitcnt vmcnt(1)
	v_pk_mul_f16 v37, v6, v23
	v_mul_f16_sdwa v38, v6, v23 dst_sel:DWORD dst_unused:UNUSED_PAD src0_sel:DWORD src1_sel:WORD_1
	v_lshrrev_b32_e32 v6, 16, v6
	s_waitcnt vmcnt(0)
	v_mul_f16_sdwa v49, v31, v13 dst_sel:DWORD dst_unused:UNUSED_PAD src0_sel:DWORD src1_sel:WORD_1
	v_mul_f16_sdwa v50, v2, v13 dst_sel:DWORD dst_unused:UNUSED_PAD src0_sel:DWORD src1_sel:WORD_1
	v_pk_mul_f16 v39, v7, v14
	v_mul_f16_sdwa v40, v7, v14 dst_sel:DWORD dst_unused:UNUSED_PAD src0_sel:DWORD src1_sel:WORD_1
	v_lshrrev_b32_e32 v7, 16, v7
	v_pk_mul_f16 v41, v8, v15
	v_mul_f16_sdwa v24, v9, v24 dst_sel:DWORD dst_unused:UNUSED_PAD src0_sel:WORD_1 src1_sel:DWORD
	v_mul_f16_sdwa v25, v10, v25 dst_sel:DWORD dst_unused:UNUSED_PAD src0_sel:WORD_1 src1_sel:DWORD
	v_mul_f16_sdwa v45, v29, v11 dst_sel:DWORD dst_unused:UNUSED_PAD src0_sel:DWORD src1_sel:WORD_1
	v_mul_f16_sdwa v47, v30, v12 dst_sel:DWORD dst_unused:UNUSED_PAD src0_sel:DWORD src1_sel:WORD_1
	;; [unrolled: 1-line block ×3, first 2 shown]
	v_sub_f16_sdwa v37, v37, v37 dst_sel:DWORD dst_unused:UNUSED_PAD src0_sel:DWORD src1_sel:WORD_1
	v_fma_f16 v6, v6, v23, v38
	v_fma_f16 v2, v2, v13, -v49
	v_fma_f16 v13, v31, v13, v50
	v_mul_f16_sdwa v42, v8, v15 dst_sel:DWORD dst_unused:UNUSED_PAD src0_sel:DWORD src1_sel:WORD_1
	v_lshrrev_b32_e32 v8, 16, v8
	v_perm_b32 v43, v10, v9, s1
	v_perm_b32 v44, v10, v9, s0
	v_mul_f16_sdwa v46, v26, v11 dst_sel:DWORD dst_unused:UNUSED_PAD src0_sel:DWORD src1_sel:WORD_1
	v_sub_f16_sdwa v23, v39, v39 dst_sel:DWORD dst_unused:UNUSED_PAD src0_sel:DWORD src1_sel:WORD_1
	v_fma_f16 v7, v7, v14, v40
	v_sub_f16_sdwa v14, v41, v41 dst_sel:DWORD dst_unused:UNUSED_PAD src0_sel:DWORD src1_sel:WORD_1
	v_fma_f16 v9, v9, v32, v24
	v_fma_f16 v10, v10, v33, v25
	v_fma_f16 v24, v26, v11, -v45
	v_fma_f16 v25, v27, v12, -v47
	v_fma_f16 v12, v30, v12, v48
	v_add_f16_e32 v27, v6, v13
	v_sub_f16_e32 v33, v37, v2
	v_sub_f16_e32 v6, v6, v13
	v_fma_f16 v8, v8, v15, v42
	v_pk_mul_f16 v15, v44, v34
	v_fma_f16 v11, v29, v11, v46
	v_add_f16_e32 v26, v37, v2
	v_add_f16_e32 v30, v7, v12
	;; [unrolled: 1-line block ×3, first 2 shown]
	v_sub_f16_e32 v13, v23, v25
	v_sub_f16_e32 v7, v7, v12
	;; [unrolled: 1-line block ×3, first 2 shown]
	v_mul_f16_e32 v2, 0x3924, v33
	v_mul_f16_e32 v14, 0x3924, v6
	v_pk_fma_f16 v15, v43, v35, v15 neg_lo:[0,0,1] neg_hi:[0,0,1]
	v_add_f16_e32 v29, v23, v25
	v_add_f16_e32 v32, v8, v11
	v_sub_f16_e32 v8, v8, v11
	v_fma_f16 v25, v27, s7, v36
	v_fma_f16 v2, v13, s2, v2
	v_fma_f16 v14, v7, s2, v14
	v_sub_f16_e32 v11, v9, v10
	v_sub_f16_sdwa v23, v15, v15 dst_sel:DWORD dst_unused:UNUSED_PAD src0_sel:DWORD src1_sel:WORD_1
	v_fma_f16 v25, v30, s10, v25
	v_fma_f16 v2, v12, s3, v2
	;; [unrolled: 1-line block ×5, first 2 shown]
	v_fma_f16 v14, v32, -0.5, v25
	v_add_f16_e32 v35, v9, v10
	s_mov_b32 s0, 0xbb84
	v_fma_f16 v14, v35, s0, v14
	v_sub_f16_e32 v37, v14, v34
	v_fma_f16 v14, v34, 2.0, v37
	v_mul_f16_e32 v34, 0xb924, v23
	v_mul_f16_e32 v38, 0xb924, v11
	v_fma_f16 v34, v33, s2, v34
	v_fma_f16 v38, v6, s2, v38
	s_mov_b32 s2, 0xbaee
	s_mov_b32 s1, 0xb924
	v_fma_f16 v34, v12, s2, v34
	v_add_f16_e32 v41, v23, v33
	v_mul_f16_e32 v23, 0x3be1, v23
	v_fma_f16 v38, v8, s2, v38
	v_fma_f16 v34, v13, s6, v34
	v_add_f16_e32 v42, v11, v6
	v_sub_f16_e32 v41, v41, v13
	v_mul_f16_e32 v11, 0x3be1, v11
	v_fma_f16 v13, v13, s1, -v23
	v_fma_f16 v38, v7, s6, v38
	v_sub_f16_e32 v42, v42, v7
	v_add_f16_e32 v48, v30, v27
	v_fma_f16 v7, v7, s1, -v11
	v_fma_f16 v11, v12, s3, v13
	v_fma_f16 v7, v8, s3, v7
	;; [unrolled: 1-line block ×3, first 2 shown]
	v_add_f16_e32 v11, v32, v48
	v_fma_f16 v24, v26, s7, v22
	v_add_f16_sdwa v25, v15, v15 dst_sel:DWORD dst_unused:UNUSED_PAD src0_sel:DWORD src1_sel:WORD_1
	v_add_f16_e32 v47, v29, v26
	v_add_f16_e32 v9, v9, v11
	v_fma_f16 v24, v29, s10, v24
	v_fma_f16 v39, v25, s7, v22
	;; [unrolled: 1-line block ×4, first 2 shown]
	v_add_f16_e32 v7, v31, v47
	v_add_f16_e32 v9, v10, v9
	v_fma_f16 v10, v29, s7, v22
	v_fma_f16 v11, v30, s7, v36
	v_fma_f16 v24, v31, -0.5, v24
	v_fma_f16 v39, v26, s10, v39
	v_fma_f16 v40, v27, s10, v40
	v_add_f16_e32 v7, v15, v7
	v_fma_f16 v10, v25, s10, v10
	v_fma_f16 v11, v35, s10, v11
	;; [unrolled: 1-line block ×3, first 2 shown]
	v_fma_f16 v39, v31, -0.5, v39
	v_fma_f16 v40, v32, -0.5, v40
	v_add_f16_e32 v45, v31, v22
	v_add_f16_e32 v46, v32, v36
	;; [unrolled: 1-line block ×4, first 2 shown]
	v_add_f16_sdwa v7, v15, v7 dst_sel:DWORD dst_unused:UNUSED_PAD src0_sel:WORD_1 src1_sel:DWORD
	v_fma_f16 v10, v31, -0.5, v10
	v_fma_f16 v11, v32, -0.5, v11
	v_mov_b32_e32 v13, 2
	v_add_f16_e32 v24, v2, v24
	v_fma_f16 v39, v29, s0, v39
	v_fma_f16 v40, v30, s0, v40
	v_fma_f16 v45, v49, -0.5, v45
	v_fma_f16 v46, v50, -0.5, v46
	v_add_f16_e32 v7, v22, v7
	v_add_f16_e32 v9, v36, v9
	v_fma_f16 v10, v26, s0, v10
	v_fma_f16 v11, v27, s0, v11
	v_mul_u32_u24_e32 v12, 0x18c, v21
	v_lshlrev_b32_sdwa v13, v13, v28 dst_sel:DWORD dst_unused:UNUSED_PAD src0_sel:DWORD src1_sel:BYTE_0
	v_add_f16_e32 v39, v38, v39
	v_sub_f16_e32 v40, v40, v34
	v_mul_f16_e32 v43, 0x3aee, v41
	v_mul_f16_e32 v44, 0x3aee, v42
	v_fma_f16 v42, v42, s3, v45
	v_fma_f16 v41, v41, s2, v46
	v_add_f16_e32 v10, v6, v10
	v_sub_f16_e32 v11, v11, v8
	v_add3_u32 v12, 0, v12, v13
	v_pack_b32_f16 v7, v7, v9
	v_pack_b32_f16 v9, v24, v37
	v_fma_f16 v6, v6, -2.0, v10
	v_fma_f16 v8, v8, 2.0, v11
	ds_write2_b32 v12, v7, v9 offset1:11
	v_pack_b32_f16 v7, v39, v40
	v_pack_b32_f16 v9, v42, v41
	v_fma_f16 v38, v38, -2.0, v39
	v_fma_f16 v34, v34, 2.0, v40
	v_fma_f16 v44, v44, -2.0, v42
	v_fma_f16 v43, v43, 2.0, v41
	ds_write2_b32 v12, v7, v9 offset0:22 offset1:33
	v_pack_b32_f16 v7, v10, v11
	v_pack_b32_f16 v6, v6, v8
	v_fma_f16 v2, v2, -2.0, v24
	ds_write2_b32 v12, v7, v6 offset0:44 offset1:55
	v_pack_b32_f16 v6, v44, v43
	v_pack_b32_f16 v7, v38, v34
	ds_write2_b32 v12, v6, v7 offset0:66 offset1:77
	v_pack_b32_f16 v6, v2, v14
	ds_write_b32 v12, v6 offset:352
	s_waitcnt lgkmcnt(0)
	; wave barrier
	s_waitcnt lgkmcnt(0)
	ds_read2_b32 v[6:7], v16 offset1:44
	ds_read2_b32 v[8:9], v16 offset0:99 offset1:143
	ds_read2_b32 v[10:11], v16 offset0:198 offset1:242
	;; [unrolled: 1-line block ×3, first 2 shown]
	v_cmp_gt_u32_e64 s[0:1], 11, v17
                                        ; implicit-def: $vgpr21
	s_and_saveexec_b64 s[2:3], s[0:1]
	s_cbranch_execz .LBB0_15
; %bb.14:
	v_add_u32_e32 v4, 0x400, v16
	ds_read2_b32 v[2:3], v16 offset0:88 offset1:187
	ds_read2_b32 v[4:5], v4 offset0:30 offset1:129
	s_waitcnt lgkmcnt(1)
	v_lshrrev_b32_e32 v14, 16, v2
	s_waitcnt lgkmcnt(0)
	v_lshrrev_b32_e32 v19, 16, v4
	v_lshrrev_b32_e32 v21, 16, v5
	;; [unrolled: 1-line block ×3, first 2 shown]
.LBB0_15:
	s_or_b64 exec, exec, s[2:3]
	v_mul_u32_u24_e32 v15, 3, v17
	v_lshlrev_b32_e32 v15, 2, v15
	global_load_dwordx3 v[24:26], v15, s[4:5] offset:352
	global_load_dwordx3 v[28:30], v15, s[4:5] offset:880
	s_waitcnt lgkmcnt(0)
	v_lshrrev_b32_e32 v31, 16, v13
	v_lshrrev_b32_e32 v32, 16, v11
	;; [unrolled: 1-line block ×8, first 2 shown]
	v_add_u32_e32 v15, 0x58, v17
	v_add_u32_e32 v22, 0x400, v16
	s_waitcnt lgkmcnt(0)
	; wave barrier
	s_waitcnt vmcnt(1)
	v_mul_f16_sdwa v37, v24, v36 dst_sel:DWORD dst_unused:UNUSED_PAD src0_sel:WORD_1 src1_sel:DWORD
	v_mul_f16_sdwa v38, v24, v8 dst_sel:DWORD dst_unused:UNUSED_PAD src0_sel:WORD_1 src1_sel:DWORD
	;; [unrolled: 1-line block ×6, first 2 shown]
	s_waitcnt vmcnt(0)
	v_mul_f16_sdwa v43, v28, v33 dst_sel:DWORD dst_unused:UNUSED_PAD src0_sel:WORD_1 src1_sel:DWORD
	v_mul_f16_sdwa v44, v28, v9 dst_sel:DWORD dst_unused:UNUSED_PAD src0_sel:WORD_1 src1_sel:DWORD
	;; [unrolled: 1-line block ×6, first 2 shown]
	v_fma_f16 v8, v24, v8, -v37
	v_fma_f16 v24, v24, v36, v38
	v_fma_f16 v10, v25, v10, -v39
	v_fma_f16 v25, v25, v35, v40
	;; [unrolled: 2-line block ×6, first 2 shown]
	v_sub_f16_e32 v10, v6, v10
	v_sub_f16_e32 v25, v23, v25
	;; [unrolled: 1-line block ×8, first 2 shown]
	v_fma_f16 v6, v6, 2.0, -v10
	v_fma_f16 v23, v23, 2.0, -v25
	;; [unrolled: 1-line block ×4, first 2 shown]
	v_sub_f16_e32 v26, v10, v26
	v_add_f16_e32 v12, v25, v12
	v_fma_f16 v7, v7, 2.0, -v11
	v_fma_f16 v27, v27, 2.0, -v29
	;; [unrolled: 1-line block ×4, first 2 shown]
	v_sub_f16_e32 v30, v11, v30
	v_add_f16_e32 v13, v29, v13
	v_sub_f16_e32 v8, v6, v8
	v_sub_f16_e32 v24, v23, v24
	v_fma_f16 v10, v10, 2.0, -v26
	v_fma_f16 v25, v25, 2.0, -v12
	v_sub_f16_e32 v9, v7, v9
	v_sub_f16_e32 v28, v27, v28
	v_fma_f16 v11, v11, 2.0, -v30
	v_fma_f16 v29, v29, 2.0, -v13
	v_pack_b32_f16 v12, v26, v12
	v_fma_f16 v6, v6, 2.0, -v8
	v_fma_f16 v23, v23, 2.0, -v24
	v_fma_f16 v7, v7, 2.0, -v9
	v_fma_f16 v26, v27, 2.0, -v28
	v_pack_b32_f16 v10, v10, v25
	v_pack_b32_f16 v11, v11, v29
	;; [unrolled: 1-line block ×7, first 2 shown]
	ds_write2_b32 v16, v10, v11 offset0:99 offset1:143
	ds_write2_b32 v16, v8, v9 offset0:198 offset1:242
	ds_write2_b32 v16, v6, v7 offset1:44
	ds_write2_b32 v22, v12, v13 offset0:41 offset1:85
	s_and_saveexec_b64 s[2:3], s[0:1]
	s_cbranch_execz .LBB0_17
; %bb.16:
	v_add_u32_e32 v6, -11, v17
	v_cndmask_b32_e64 v6, v6, v15, s[0:1]
	v_mul_i32_i24_e32 v6, 3, v6
	v_mov_b32_e32 v7, 0
	v_lshl_add_u64 v[6:7], v[6:7], 2, s[4:5]
	global_load_dwordx3 v[6:8], v[6:7], off offset:352
	s_waitcnt vmcnt(0)
	v_mul_f16_sdwa v9, v19, v7 dst_sel:DWORD dst_unused:UNUSED_PAD src0_sel:DWORD src1_sel:WORD_1
	v_mul_f16_sdwa v10, v3, v6 dst_sel:DWORD dst_unused:UNUSED_PAD src0_sel:DWORD src1_sel:WORD_1
	;; [unrolled: 1-line block ×6, first 2 shown]
	v_fma_f16 v4, v4, v7, -v9
	v_fma_f16 v9, v20, v6, v10
	v_fma_f16 v10, v21, v8, v11
	;; [unrolled: 1-line block ×3, first 2 shown]
	v_fma_f16 v3, v3, v6, -v13
	v_fma_f16 v5, v5, v8, -v23
	v_sub_f16_e32 v4, v2, v4
	v_sub_f16_e32 v6, v9, v10
	;; [unrolled: 1-line block ×5, first 2 shown]
	v_add_f16_e32 v10, v7, v5
	v_fma_f16 v2, v2, 2.0, -v4
	v_fma_f16 v3, v3, 2.0, -v5
	;; [unrolled: 1-line block ×4, first 2 shown]
	v_sub_f16_e32 v3, v2, v3
	v_sub_f16_e32 v6, v5, v6
	v_fma_f16 v4, v4, 2.0, -v8
	v_fma_f16 v7, v7, 2.0, -v10
	;; [unrolled: 1-line block ×4, first 2 shown]
	v_pack_b32_f16 v4, v4, v7
	v_pack_b32_f16 v2, v2, v5
	;; [unrolled: 1-line block ×4, first 2 shown]
	ds_write2_b32 v16, v2, v4 offset0:88 offset1:187
	ds_write2_b32 v22, v3, v8 offset0:30 offset1:129
.LBB0_17:
	s_or_b64 exec, exec, s[2:3]
	s_waitcnt lgkmcnt(0)
	; wave barrier
	s_waitcnt lgkmcnt(0)
	s_and_saveexec_b64 s[0:1], vcc
	s_cbranch_execz .LBB0_19
; %bb.18:
	v_mad_u64_u32 v[2:3], s[0:1], s8, v17, 0
	ds_read2_b32 v[6:7], v16 offset1:44
	v_mov_b32_e32 v4, v3
	v_mad_u64_u32 v[4:5], s[0:1], s9, v17, v[4:5]
	v_mov_b32_e32 v3, v4
	v_lshl_add_u64 v[2:3], v[2:3], 2, v[0:1]
	s_waitcnt lgkmcnt(0)
	global_store_dword v[2:3], v6, off
	v_mad_u64_u32 v[2:3], s[0:1], s8, v18, 0
	v_mov_b32_e32 v4, v3
	v_mad_u64_u32 v[4:5], s[0:1], s9, v18, v[4:5]
	v_mov_b32_e32 v3, v4
	v_lshl_add_u64 v[2:3], v[2:3], 2, v[0:1]
	global_store_dword v[2:3], v7, off
	v_mad_u64_u32 v[2:3], s[0:1], s8, v15, 0
	ds_read2_b32 v[6:7], v16 offset0:88 offset1:132
	v_mov_b32_e32 v4, v3
	v_mad_u64_u32 v[4:5], s[0:1], s9, v15, v[4:5]
	v_mov_b32_e32 v3, v4
	v_lshl_add_u64 v[2:3], v[2:3], 2, v[0:1]
	v_add_u32_e32 v5, 0x84, v17
	s_waitcnt lgkmcnt(0)
	global_store_dword v[2:3], v6, off
	v_mad_u64_u32 v[2:3], s[0:1], s8, v5, 0
	v_mov_b32_e32 v4, v3
	v_mad_u64_u32 v[4:5], s[0:1], s9, v5, v[4:5]
	v_mov_b32_e32 v3, v4
	v_lshl_add_u64 v[2:3], v[2:3], 2, v[0:1]
	v_add_u32_e32 v5, 0xb0, v17
	global_store_dword v[2:3], v7, off
	v_mad_u64_u32 v[2:3], s[0:1], s8, v5, 0
	ds_read2_b32 v[6:7], v16 offset0:176 offset1:220
	v_mov_b32_e32 v4, v3
	v_mad_u64_u32 v[4:5], s[0:1], s9, v5, v[4:5]
	v_mov_b32_e32 v3, v4
	v_lshl_add_u64 v[2:3], v[2:3], 2, v[0:1]
	v_add_u32_e32 v5, 0xdc, v17
	s_waitcnt lgkmcnt(0)
	global_store_dword v[2:3], v6, off
	v_mad_u64_u32 v[2:3], s[0:1], s8, v5, 0
	v_mov_b32_e32 v4, v3
	v_mad_u64_u32 v[4:5], s[0:1], s9, v5, v[4:5]
	v_mov_b32_e32 v3, v4
	v_lshl_add_u64 v[2:3], v[2:3], 2, v[0:1]
	v_add_u32_e32 v5, 0x108, v17
	global_store_dword v[2:3], v7, off
	v_mad_u64_u32 v[2:3], s[0:1], s8, v5, 0
	v_mov_b32_e32 v4, v3
	v_add_u32_e32 v3, 0x400, v16
	ds_read2_b32 v[6:7], v3 offset0:8 offset1:52
	v_mad_u64_u32 v[4:5], s[0:1], s9, v5, v[4:5]
	v_mov_b32_e32 v3, v4
	v_lshl_add_u64 v[2:3], v[2:3], 2, v[0:1]
	v_add_u32_e32 v5, 0x134, v17
	s_waitcnt lgkmcnt(0)
	global_store_dword v[2:3], v6, off
	v_mad_u64_u32 v[2:3], s[0:1], s8, v5, 0
	v_mov_b32_e32 v4, v3
	v_mad_u64_u32 v[4:5], s[0:1], s9, v5, v[4:5]
	v_mov_b32_e32 v3, v4
	v_lshl_add_u64 v[2:3], v[2:3], 2, v[0:1]
	v_add_u32_e32 v5, 0x160, v17
	global_store_dword v[2:3], v7, off
	v_mad_u64_u32 v[2:3], s[0:1], s8, v5, 0
	ds_read_b32 v6, v16 offset:1408
	v_mov_b32_e32 v4, v3
	v_mad_u64_u32 v[4:5], s[0:1], s9, v5, v[4:5]
	v_mov_b32_e32 v3, v4
	v_lshl_add_u64 v[0:1], v[2:3], 2, v[0:1]
	s_waitcnt lgkmcnt(0)
	global_store_dword v[0:1], v6, off
.LBB0_19:
	s_endpgm
	.section	.rodata,"a",@progbits
	.p2align	6, 0x0
	.amdhsa_kernel fft_rtc_fwd_len396_factors_11_9_4_wgs_44_tpt_44_half_ip_CI_sbrr_dirReg
		.amdhsa_group_segment_fixed_size 0
		.amdhsa_private_segment_fixed_size 0
		.amdhsa_kernarg_size 88
		.amdhsa_user_sgpr_count 2
		.amdhsa_user_sgpr_dispatch_ptr 0
		.amdhsa_user_sgpr_queue_ptr 0
		.amdhsa_user_sgpr_kernarg_segment_ptr 1
		.amdhsa_user_sgpr_dispatch_id 0
		.amdhsa_user_sgpr_kernarg_preload_length 0
		.amdhsa_user_sgpr_kernarg_preload_offset 0
		.amdhsa_user_sgpr_private_segment_size 0
		.amdhsa_uses_dynamic_stack 0
		.amdhsa_enable_private_segment 0
		.amdhsa_system_sgpr_workgroup_id_x 1
		.amdhsa_system_sgpr_workgroup_id_y 0
		.amdhsa_system_sgpr_workgroup_id_z 0
		.amdhsa_system_sgpr_workgroup_info 0
		.amdhsa_system_vgpr_workitem_id 0
		.amdhsa_next_free_vgpr 93
		.amdhsa_next_free_sgpr 24
		.amdhsa_accum_offset 96
		.amdhsa_reserve_vcc 1
		.amdhsa_float_round_mode_32 0
		.amdhsa_float_round_mode_16_64 0
		.amdhsa_float_denorm_mode_32 3
		.amdhsa_float_denorm_mode_16_64 3
		.amdhsa_dx10_clamp 1
		.amdhsa_ieee_mode 1
		.amdhsa_fp16_overflow 0
		.amdhsa_tg_split 0
		.amdhsa_exception_fp_ieee_invalid_op 0
		.amdhsa_exception_fp_denorm_src 0
		.amdhsa_exception_fp_ieee_div_zero 0
		.amdhsa_exception_fp_ieee_overflow 0
		.amdhsa_exception_fp_ieee_underflow 0
		.amdhsa_exception_fp_ieee_inexact 0
		.amdhsa_exception_int_div_zero 0
	.end_amdhsa_kernel
	.text
.Lfunc_end0:
	.size	fft_rtc_fwd_len396_factors_11_9_4_wgs_44_tpt_44_half_ip_CI_sbrr_dirReg, .Lfunc_end0-fft_rtc_fwd_len396_factors_11_9_4_wgs_44_tpt_44_half_ip_CI_sbrr_dirReg
                                        ; -- End function
	.section	.AMDGPU.csdata,"",@progbits
; Kernel info:
; codeLenInByte = 6796
; NumSgprs: 30
; NumVgprs: 93
; NumAgprs: 0
; TotalNumVgprs: 93
; ScratchSize: 0
; MemoryBound: 0
; FloatMode: 240
; IeeeMode: 1
; LDSByteSize: 0 bytes/workgroup (compile time only)
; SGPRBlocks: 3
; VGPRBlocks: 11
; NumSGPRsForWavesPerEU: 30
; NumVGPRsForWavesPerEU: 93
; AccumOffset: 96
; Occupancy: 5
; WaveLimiterHint : 1
; COMPUTE_PGM_RSRC2:SCRATCH_EN: 0
; COMPUTE_PGM_RSRC2:USER_SGPR: 2
; COMPUTE_PGM_RSRC2:TRAP_HANDLER: 0
; COMPUTE_PGM_RSRC2:TGID_X_EN: 1
; COMPUTE_PGM_RSRC2:TGID_Y_EN: 0
; COMPUTE_PGM_RSRC2:TGID_Z_EN: 0
; COMPUTE_PGM_RSRC2:TIDIG_COMP_CNT: 0
; COMPUTE_PGM_RSRC3_GFX90A:ACCUM_OFFSET: 23
; COMPUTE_PGM_RSRC3_GFX90A:TG_SPLIT: 0
	.text
	.p2alignl 6, 3212836864
	.fill 256, 4, 3212836864
	.type	__hip_cuid_938447475bd8b275,@object ; @__hip_cuid_938447475bd8b275
	.section	.bss,"aw",@nobits
	.globl	__hip_cuid_938447475bd8b275
__hip_cuid_938447475bd8b275:
	.byte	0                               ; 0x0
	.size	__hip_cuid_938447475bd8b275, 1

	.ident	"AMD clang version 19.0.0git (https://github.com/RadeonOpenCompute/llvm-project roc-6.4.0 25133 c7fe45cf4b819c5991fe208aaa96edf142730f1d)"
	.section	".note.GNU-stack","",@progbits
	.addrsig
	.addrsig_sym __hip_cuid_938447475bd8b275
	.amdgpu_metadata
---
amdhsa.kernels:
  - .agpr_count:     0
    .args:
      - .actual_access:  read_only
        .address_space:  global
        .offset:         0
        .size:           8
        .value_kind:     global_buffer
      - .offset:         8
        .size:           8
        .value_kind:     by_value
      - .actual_access:  read_only
        .address_space:  global
        .offset:         16
        .size:           8
        .value_kind:     global_buffer
      - .actual_access:  read_only
        .address_space:  global
        .offset:         24
        .size:           8
        .value_kind:     global_buffer
      - .offset:         32
        .size:           8
        .value_kind:     by_value
      - .actual_access:  read_only
        .address_space:  global
        .offset:         40
        .size:           8
        .value_kind:     global_buffer
      - .actual_access:  read_only
        .address_space:  global
        .offset:         48
        .size:           8
        .value_kind:     global_buffer
      - .offset:         56
        .size:           4
        .value_kind:     by_value
      - .actual_access:  read_only
        .address_space:  global
        .offset:         64
        .size:           8
        .value_kind:     global_buffer
      - .actual_access:  read_only
        .address_space:  global
        .offset:         72
        .size:           8
        .value_kind:     global_buffer
      - .address_space:  global
        .offset:         80
        .size:           8
        .value_kind:     global_buffer
    .group_segment_fixed_size: 0
    .kernarg_segment_align: 8
    .kernarg_segment_size: 88
    .language:       OpenCL C
    .language_version:
      - 2
      - 0
    .max_flat_workgroup_size: 44
    .name:           fft_rtc_fwd_len396_factors_11_9_4_wgs_44_tpt_44_half_ip_CI_sbrr_dirReg
    .private_segment_fixed_size: 0
    .sgpr_count:     30
    .sgpr_spill_count: 0
    .symbol:         fft_rtc_fwd_len396_factors_11_9_4_wgs_44_tpt_44_half_ip_CI_sbrr_dirReg.kd
    .uniform_work_group_size: 1
    .uses_dynamic_stack: false
    .vgpr_count:     93
    .vgpr_spill_count: 0
    .wavefront_size: 64
amdhsa.target:   amdgcn-amd-amdhsa--gfx950
amdhsa.version:
  - 1
  - 2
...

	.end_amdgpu_metadata
